;; amdgpu-corpus repo=ROCm/rocFFT kind=compiled arch=gfx950 opt=O3
	.text
	.amdgcn_target "amdgcn-amd-amdhsa--gfx950"
	.amdhsa_code_object_version 6
	.protected	fft_rtc_fwd_len1100_factors_2_2_11_5_5_wgs_110_tpt_110_half_ip_CI_unitstride_sbrr_R2C_dirReg ; -- Begin function fft_rtc_fwd_len1100_factors_2_2_11_5_5_wgs_110_tpt_110_half_ip_CI_unitstride_sbrr_R2C_dirReg
	.globl	fft_rtc_fwd_len1100_factors_2_2_11_5_5_wgs_110_tpt_110_half_ip_CI_unitstride_sbrr_R2C_dirReg
	.p2align	8
	.type	fft_rtc_fwd_len1100_factors_2_2_11_5_5_wgs_110_tpt_110_half_ip_CI_unitstride_sbrr_R2C_dirReg,@function
fft_rtc_fwd_len1100_factors_2_2_11_5_5_wgs_110_tpt_110_half_ip_CI_unitstride_sbrr_R2C_dirReg: ; @fft_rtc_fwd_len1100_factors_2_2_11_5_5_wgs_110_tpt_110_half_ip_CI_unitstride_sbrr_R2C_dirReg
; %bb.0:
	s_load_dwordx2 s[8:9], s[0:1], 0x50
	s_load_dwordx4 s[4:7], s[0:1], 0x0
	s_load_dwordx2 s[10:11], s[0:1], 0x18
	v_mul_u32_u24_e32 v1, 0x254, v0
	v_add_u32_sdwa v6, s2, v1 dst_sel:DWORD dst_unused:UNUSED_PAD src0_sel:DWORD src1_sel:WORD_1
	v_mov_b32_e32 v4, 0
	s_waitcnt lgkmcnt(0)
	v_cmp_lt_u64_e64 s[2:3], s[6:7], 2
	v_mov_b32_e32 v7, v4
	s_and_b64 vcc, exec, s[2:3]
	v_mov_b64_e32 v[2:3], 0
	s_cbranch_vccnz .LBB0_8
; %bb.1:
	s_load_dwordx2 s[2:3], s[0:1], 0x10
	s_add_u32 s12, s10, 8
	s_addc_u32 s13, s11, 0
	s_mov_b64 s[14:15], 1
	v_mov_b64_e32 v[2:3], 0
	s_waitcnt lgkmcnt(0)
	s_add_u32 s16, s2, 8
	s_addc_u32 s17, s3, 0
.LBB0_2:                                ; =>This Inner Loop Header: Depth=1
	s_load_dwordx2 s[18:19], s[16:17], 0x0
                                        ; implicit-def: $vgpr8_vgpr9
	s_waitcnt lgkmcnt(0)
	v_or_b32_e32 v5, s19, v7
	v_cmp_ne_u64_e32 vcc, 0, v[4:5]
	s_and_saveexec_b64 s[2:3], vcc
	s_xor_b64 s[20:21], exec, s[2:3]
	s_cbranch_execz .LBB0_4
; %bb.3:                                ;   in Loop: Header=BB0_2 Depth=1
	v_cvt_f32_u32_e32 v1, s18
	v_cvt_f32_u32_e32 v5, s19
	s_sub_u32 s2, 0, s18
	s_subb_u32 s3, 0, s19
	v_fmac_f32_e32 v1, 0x4f800000, v5
	v_rcp_f32_e32 v1, v1
	s_nop 0
	v_mul_f32_e32 v1, 0x5f7ffffc, v1
	v_mul_f32_e32 v5, 0x2f800000, v1
	v_trunc_f32_e32 v5, v5
	v_fmac_f32_e32 v1, 0xcf800000, v5
	v_cvt_u32_f32_e32 v5, v5
	v_cvt_u32_f32_e32 v1, v1
	v_mul_lo_u32 v8, s2, v5
	v_mul_hi_u32 v10, s2, v1
	v_mul_lo_u32 v9, s3, v1
	v_add_u32_e32 v10, v10, v8
	v_mul_lo_u32 v12, s2, v1
	v_add_u32_e32 v13, v10, v9
	v_mul_hi_u32 v8, v1, v12
	v_mul_hi_u32 v11, v1, v13
	v_mul_lo_u32 v10, v1, v13
	v_mov_b32_e32 v9, v4
	v_lshl_add_u64 v[8:9], v[8:9], 0, v[10:11]
	v_mul_hi_u32 v11, v5, v12
	v_mul_lo_u32 v12, v5, v12
	v_add_co_u32_e32 v8, vcc, v8, v12
	v_mul_hi_u32 v10, v5, v13
	s_nop 0
	v_addc_co_u32_e32 v8, vcc, v9, v11, vcc
	v_mov_b32_e32 v9, v4
	s_nop 0
	v_addc_co_u32_e32 v11, vcc, 0, v10, vcc
	v_mul_lo_u32 v10, v5, v13
	v_lshl_add_u64 v[8:9], v[8:9], 0, v[10:11]
	v_add_co_u32_e32 v1, vcc, v1, v8
	v_mul_lo_u32 v10, s2, v1
	s_nop 0
	v_addc_co_u32_e32 v5, vcc, v5, v9, vcc
	v_mul_lo_u32 v8, s2, v5
	v_mul_hi_u32 v9, s2, v1
	v_add_u32_e32 v8, v9, v8
	v_mul_lo_u32 v9, s3, v1
	v_add_u32_e32 v12, v8, v9
	v_mul_hi_u32 v14, v5, v10
	v_mul_lo_u32 v15, v5, v10
	v_mul_hi_u32 v9, v1, v12
	v_mul_lo_u32 v8, v1, v12
	v_mul_hi_u32 v10, v1, v10
	v_mov_b32_e32 v11, v4
	v_lshl_add_u64 v[8:9], v[10:11], 0, v[8:9]
	v_add_co_u32_e32 v8, vcc, v8, v15
	v_mul_hi_u32 v13, v5, v12
	s_nop 0
	v_addc_co_u32_e32 v8, vcc, v9, v14, vcc
	v_mul_lo_u32 v10, v5, v12
	s_nop 0
	v_addc_co_u32_e32 v11, vcc, 0, v13, vcc
	v_mov_b32_e32 v9, v4
	v_lshl_add_u64 v[8:9], v[8:9], 0, v[10:11]
	v_add_co_u32_e32 v1, vcc, v1, v8
	v_mul_hi_u32 v10, v6, v1
	s_nop 0
	v_addc_co_u32_e32 v5, vcc, v5, v9, vcc
	v_mad_u64_u32 v[8:9], s[2:3], v6, v5, 0
	v_mov_b32_e32 v11, v4
	v_lshl_add_u64 v[8:9], v[10:11], 0, v[8:9]
	v_mad_u64_u32 v[12:13], s[2:3], v7, v1, 0
	v_add_co_u32_e32 v1, vcc, v8, v12
	v_mad_u64_u32 v[10:11], s[2:3], v7, v5, 0
	s_nop 0
	v_addc_co_u32_e32 v8, vcc, v9, v13, vcc
	v_mov_b32_e32 v9, v4
	s_nop 0
	v_addc_co_u32_e32 v11, vcc, 0, v11, vcc
	v_lshl_add_u64 v[8:9], v[8:9], 0, v[10:11]
	v_mul_lo_u32 v1, s19, v8
	v_mul_lo_u32 v5, s18, v9
	v_mad_u64_u32 v[10:11], s[2:3], s18, v8, 0
	v_add3_u32 v1, v11, v5, v1
	v_sub_u32_e32 v5, v7, v1
	v_mov_b32_e32 v11, s19
	v_sub_co_u32_e32 v14, vcc, v6, v10
	v_lshl_add_u64 v[12:13], v[8:9], 0, 1
	s_nop 0
	v_subb_co_u32_e64 v5, s[2:3], v5, v11, vcc
	v_subrev_co_u32_e64 v10, s[2:3], s18, v14
	v_subb_co_u32_e32 v1, vcc, v7, v1, vcc
	s_nop 0
	v_subbrev_co_u32_e64 v5, s[2:3], 0, v5, s[2:3]
	v_cmp_le_u32_e64 s[2:3], s19, v5
	v_cmp_le_u32_e32 vcc, s19, v1
	s_nop 0
	v_cndmask_b32_e64 v11, 0, -1, s[2:3]
	v_cmp_le_u32_e64 s[2:3], s18, v10
	s_nop 1
	v_cndmask_b32_e64 v10, 0, -1, s[2:3]
	v_cmp_eq_u32_e64 s[2:3], s19, v5
	s_nop 1
	v_cndmask_b32_e64 v5, v11, v10, s[2:3]
	v_lshl_add_u64 v[10:11], v[8:9], 0, 2
	v_cmp_ne_u32_e64 s[2:3], 0, v5
	s_nop 1
	v_cndmask_b32_e64 v5, v13, v11, s[2:3]
	v_cndmask_b32_e64 v11, 0, -1, vcc
	v_cmp_le_u32_e32 vcc, s18, v14
	s_nop 1
	v_cndmask_b32_e64 v13, 0, -1, vcc
	v_cmp_eq_u32_e32 vcc, s19, v1
	s_nop 1
	v_cndmask_b32_e32 v1, v11, v13, vcc
	v_cmp_ne_u32_e32 vcc, 0, v1
	v_cndmask_b32_e64 v1, v12, v10, s[2:3]
	s_nop 0
	v_cndmask_b32_e32 v9, v9, v5, vcc
	v_cndmask_b32_e32 v8, v8, v1, vcc
.LBB0_4:                                ;   in Loop: Header=BB0_2 Depth=1
	s_andn2_saveexec_b64 s[2:3], s[20:21]
	s_cbranch_execz .LBB0_6
; %bb.5:                                ;   in Loop: Header=BB0_2 Depth=1
	v_cvt_f32_u32_e32 v1, s18
	s_sub_i32 s20, 0, s18
	v_rcp_iflag_f32_e32 v1, v1
	s_nop 0
	v_mul_f32_e32 v1, 0x4f7ffffe, v1
	v_cvt_u32_f32_e32 v1, v1
	v_mul_lo_u32 v5, s20, v1
	v_mul_hi_u32 v5, v1, v5
	v_add_u32_e32 v1, v1, v5
	v_mul_hi_u32 v1, v6, v1
	v_mul_lo_u32 v5, v1, s18
	v_sub_u32_e32 v5, v6, v5
	v_add_u32_e32 v8, 1, v1
	v_subrev_u32_e32 v9, s18, v5
	v_cmp_le_u32_e32 vcc, s18, v5
	s_nop 1
	v_cndmask_b32_e32 v5, v5, v9, vcc
	v_cndmask_b32_e32 v1, v1, v8, vcc
	v_add_u32_e32 v8, 1, v1
	v_cmp_le_u32_e32 vcc, s18, v5
	v_mov_b32_e32 v9, v4
	s_nop 0
	v_cndmask_b32_e32 v8, v1, v8, vcc
.LBB0_6:                                ;   in Loop: Header=BB0_2 Depth=1
	s_or_b64 exec, exec, s[2:3]
	v_mad_u64_u32 v[10:11], s[2:3], v8, s18, 0
	s_load_dwordx2 s[2:3], s[12:13], 0x0
	v_mul_lo_u32 v1, v9, s18
	v_mul_lo_u32 v5, v8, s19
	v_add3_u32 v1, v11, v5, v1
	v_sub_co_u32_e32 v5, vcc, v6, v10
	s_add_u32 s14, s14, 1
	s_nop 0
	v_subb_co_u32_e32 v1, vcc, v7, v1, vcc
	s_addc_u32 s15, s15, 0
	s_waitcnt lgkmcnt(0)
	v_mul_lo_u32 v1, s2, v1
	v_mul_lo_u32 v6, s3, v5
	v_mad_u64_u32 v[2:3], s[2:3], s2, v5, v[2:3]
	s_add_u32 s12, s12, 8
	v_add3_u32 v3, v6, v3, v1
	s_addc_u32 s13, s13, 0
	v_mov_b64_e32 v[6:7], s[6:7]
	s_add_u32 s16, s16, 8
	v_cmp_ge_u64_e32 vcc, s[14:15], v[6:7]
	s_addc_u32 s17, s17, 0
	s_cbranch_vccnz .LBB0_9
; %bb.7:                                ;   in Loop: Header=BB0_2 Depth=1
	v_mov_b64_e32 v[6:7], v[8:9]
	s_branch .LBB0_2
.LBB0_8:
	v_mov_b64_e32 v[8:9], v[6:7]
.LBB0_9:
	s_lshl_b64 s[2:3], s[6:7], 3
	s_add_u32 s2, s10, s2
	s_addc_u32 s3, s11, s3
	s_load_dwordx2 s[6:7], s[2:3], 0x0
	s_load_dwordx2 s[10:11], s[0:1], 0x20
	s_mov_b32 s2, 0x253c826
                                        ; implicit-def: $vgpr10
                                        ; implicit-def: $vgpr6
	s_waitcnt lgkmcnt(0)
	v_mul_lo_u32 v1, s6, v9
	v_mul_lo_u32 v4, s7, v8
	v_mad_u64_u32 v[2:3], s[0:1], s6, v8, v[2:3]
	v_add3_u32 v3, v4, v3, v1
	v_mul_hi_u32 v1, v0, s2
	v_mul_u32_u24_e32 v1, 0x6e, v1
	v_cmp_gt_u64_e32 vcc, s[10:11], v[8:9]
	v_cmp_le_u64_e64 s[0:1], s[10:11], v[8:9]
	v_sub_u32_e32 v0, v0, v1
                                        ; implicit-def: $vgpr4
                                        ; implicit-def: $vgpr8
	s_and_saveexec_b64 s[2:3], s[0:1]
	s_xor_b64 s[0:1], exec, s[2:3]
; %bb.10:
	v_add_u32_e32 v4, 0x6e, v0
	v_add_u32_e32 v10, 0xdc, v0
	v_add_u32_e32 v8, 0x14a, v0
	v_add_u32_e32 v6, 0x1b8, v0
; %bb.11:
	s_or_saveexec_b64 s[0:1], s[0:1]
	v_lshl_add_u64 v[2:3], v[2:3], 2, s[8:9]
	s_xor_b64 exec, exec, s[0:1]
	s_cbranch_execz .LBB0_13
; %bb.12:
	v_mov_b32_e32 v1, 0
	v_lshl_add_u64 v[4:5], v[0:1], 2, v[2:3]
	global_load_dword v1, v[4:5], off
	global_load_dword v7, v[4:5], off offset:440
	global_load_dword v9, v[4:5], off offset:880
	;; [unrolled: 1-line block ×9, first 2 shown]
	v_lshl_add_u32 v5, v0, 2, 0
	v_add_u32_e32 v4, 0x6e, v0
	v_add_u32_e32 v10, 0xdc, v0
	;; [unrolled: 1-line block ×8, first 2 shown]
	s_waitcnt vmcnt(8)
	ds_write2_b32 v5, v1, v7 offset1:110
	s_waitcnt vmcnt(6)
	ds_write2_b32 v18, v9, v11 offset0:92 offset1:202
	s_waitcnt vmcnt(4)
	ds_write2_b32 v19, v12, v13 offset0:56 offset1:166
	;; [unrolled: 2-line block ×4, first 2 shown]
.LBB0_13:
	s_or_b64 exec, exec, s[0:1]
	v_lshlrev_b32_e32 v12, 2, v0
	v_add_u32_e32 v26, 0, v12
	v_add_u32_e32 v1, 0x600, v26
	s_waitcnt lgkmcnt(0)
	s_barrier
	ds_read2_b32 v[14:15], v1 offset0:56 offset1:166
	v_add_u32_e32 v11, 0xc00, v26
	v_add_u32_e32 v13, 0x200, v26
	;; [unrolled: 1-line block ×3, first 2 shown]
	ds_read2_b32 v[22:23], v26 offset1:110
	ds_read2_b32 v[16:17], v11 offset0:112 offset1:222
	ds_read2_b32 v[18:19], v13 offset0:92 offset1:202
	ds_read2_b32 v[20:21], v20 offset0:20 offset1:130
	v_add_u32_e32 v5, v26, v12
	s_waitcnt lgkmcnt(3)
	v_pk_add_f16 v15, v22, v15 neg_lo:[0,1] neg_hi:[0,1]
	s_waitcnt lgkmcnt(2)
	v_pk_add_f16 v17, v14, v17 neg_lo:[0,1] neg_hi:[0,1]
	;; [unrolled: 2-line block ×4, first 2 shown]
	v_pk_add_f16 v20, v23, v20 neg_lo:[0,1] neg_hi:[0,1]
	v_pk_fma_f16 v22, v22, 2.0, v15 op_sel_hi:[1,0,1] neg_lo:[0,0,1] neg_hi:[0,0,1]
	v_and_b32_e32 v31, 1, v0
	v_lshl_add_u32 v1, v4, 3, 0
	v_lshl_add_u32 v7, v10, 3, 0
	;; [unrolled: 1-line block ×4, first 2 shown]
	v_pk_fma_f16 v14, v14, 2.0, v17 op_sel_hi:[1,0,1] neg_lo:[0,0,1] neg_hi:[0,0,1]
	v_pk_fma_f16 v19, v19, 2.0, v16 op_sel_hi:[1,0,1] neg_lo:[0,0,1] neg_hi:[0,0,1]
	v_pk_fma_f16 v18, v18, 2.0, v21 op_sel_hi:[1,0,1] neg_lo:[0,0,1] neg_hi:[0,0,1]
	v_pk_fma_f16 v23, v23, 2.0, v20 op_sel_hi:[1,0,1] neg_lo:[0,0,1] neg_hi:[0,0,1]
	s_barrier
	ds_write2_b32 v5, v22, v15 offset1:1
	ds_write2_b32 v1, v23, v20 offset1:1
	;; [unrolled: 1-line block ×5, first 2 shown]
	v_lshlrev_b32_e32 v5, 2, v31
	s_waitcnt lgkmcnt(0)
	s_barrier
	global_load_dword v22, v5, s[4:5]
	v_lshlrev_b32_e32 v14, 2, v4
	v_lshlrev_b32_e32 v15, 2, v10
	;; [unrolled: 1-line block ×4, first 2 shown]
	v_sub_u32_e32 v18, v1, v14
	v_sub_u32_e32 v19, v7, v15
	;; [unrolled: 1-line block ×4, first 2 shown]
	v_add_u32_e32 v33, 0x800, v26
	ds_read_b32 v23, v26
	ds_read2_b32 v[16:17], v33 offset0:38 offset1:148
	ds_read_b32 v24, v19
	ds_read_b32 v29, v20
	;; [unrolled: 1-line block ×4, first 2 shown]
	ds_read_b32 v19, v26 offset:3960
	ds_read2_b32 v[20:21], v11 offset0:2 offset1:112
	s_mov_b32 s0, 0x7060302
	s_mov_b32 s1, 0x5040100
	;; [unrolled: 1-line block ×3, first 2 shown]
	s_waitcnt lgkmcnt(1)
	v_perm_b32 v38, v16, v19, s0
	v_perm_b32 v39, v16, v19, s1
	v_lshrrev_b32_e32 v28, 16, v23
	v_lshlrev_b32_e32 v25, 1, v0
	s_movk_i32 s0, 0xfc
	v_lshlrev_b32_e32 v32, 1, v4
	v_and_or_b32 v25, v25, s0, v31
	s_movk_i32 s0, 0x1fc
	v_and_or_b32 v32, v32, s0, v31
	v_lshlrev_b32_e32 v34, 1, v10
	v_lshl_add_u32 v32, v32, 2, 0
	s_movk_i32 s0, 0x3fc
	s_waitcnt lgkmcnt(0)
	s_barrier
	v_lshlrev_b32_e32 v35, 1, v8
	v_lshlrev_b32_e32 v36, 1, v6
	s_waitcnt vmcnt(0)
	v_pk_mul_f16 v40, v22, v38 op_sel:[1,0] op_sel_hi:[0,1]
	v_pk_mul_f16 v38, v22, v38
	v_pk_mul_f16 v42, v22, v17 op_sel:[1,1] op_sel_hi:[0,1]
	v_pk_mul_f16 v43, v22, v20 op_sel:[1,1] op_sel_hi:[0,1]
	;; [unrolled: 1-line block ×3, first 2 shown]
	v_lshrrev_b32_e32 v45, 16, v40
	v_fma_f16 v40, v22, v19, -v40
	v_pk_fma_f16 v19, v22, v39, v38 op_sel:[1,0,0] op_sel_hi:[0,1,1] neg_lo:[0,0,1] neg_hi:[0,0,1]
	v_pk_fma_f16 v38, v22, v39, v38 op_sel:[1,0,0] op_sel_hi:[0,1,1]
	v_pk_fma_f16 v39, v22, v17, v42 op_sel_hi:[1,0,1]
	v_pk_fma_f16 v17, v22, v17, v42 op_sel_hi:[1,0,1] neg_lo:[0,0,1] neg_hi:[0,0,1]
	v_pk_fma_f16 v42, v22, v20, v43 op_sel_hi:[1,0,1]
	v_pk_fma_f16 v20, v22, v20, v43 op_sel_hi:[1,0,1] neg_lo:[0,0,1] neg_hi:[0,0,1]
	v_lshrrev_b32_e32 v41, 16, v22
	v_bfi_b32 v38, s2, v38, v19
	v_bfi_b32 v17, s2, v17, v39
	;; [unrolled: 1-line block ×3, first 2 shown]
	v_pk_fma_f16 v20, v22, v21, v44 op_sel_hi:[1,0,1]
	v_pk_fma_f16 v21, v22, v21, v44 op_sel_hi:[1,0,1] neg_lo:[0,0,1] neg_hi:[0,0,1]
	v_fma_f16 v16, v41, v16, v45
	v_pk_add_f16 v17, v18, v17 neg_lo:[0,1] neg_hi:[0,1]
	v_pk_add_f16 v19, v24, v19 neg_lo:[0,1] neg_hi:[0,1]
	v_bfi_b32 v20, s2, v21, v20
	v_sub_f16_e32 v39, v28, v16
	v_pk_fma_f16 v16, v18, 2.0, v17 op_sel_hi:[1,0,1] neg_lo:[0,0,1] neg_hi:[0,0,1]
	v_pk_fma_f16 v18, v24, 2.0, v19 op_sel_hi:[1,0,1] neg_lo:[0,0,1] neg_hi:[0,0,1]
	v_pk_add_f16 v21, v29, v20 neg_lo:[0,1] neg_hi:[0,1]
	v_alignbit_b32 v24, v23, v37, 16
	v_pk_fma_f16 v20, v29, 2.0, v21 op_sel_hi:[1,0,1] neg_lo:[0,0,1] neg_hi:[0,0,1]
	v_pk_add_f16 v29, v24, v38 neg_lo:[0,1] neg_hi:[0,1]
	v_fma_f16 v28, v28, 2.0, -v39
	v_sub_f16_e32 v23, v37, v40
	v_pk_fma_f16 v24, v24, 2.0, v29 op_sel_hi:[1,0,1] neg_lo:[0,0,1] neg_hi:[0,0,1]
	v_fma_f16 v22, v37, 2.0, -v23
	v_lshl_add_u32 v37, v25, 2, 0
	v_alignbit_b32 v38, v28, v24, 16
	v_alignbit_b32 v25, v39, v29, 16
	ds_write2_b32 v37, v38, v25 offset1:2
	ds_write2_b32 v32, v16, v17 offset1:2
	v_and_or_b32 v32, v34, s0, v31
	v_lshl_add_u32 v32, v32, 2, 0
	ds_write2_b32 v32, v18, v19 offset1:2
	v_and_or_b32 v32, v35, s0, v31
	s_movk_i32 s0, 0x7fc
	v_lshl_add_u32 v32, v32, 2, 0
	v_and_or_b32 v31, v36, s0, v31
	s_movk_i32 s0, 0x64
	ds_write2_b32 v32, v20, v21 offset1:2
	v_lshl_add_u32 v31, v31, 2, 0
	v_pack_b32_f16 v32, v22, v24
	v_pack_b32_f16 v34, v23, v29
	v_cmp_gt_u32_e64 s[0:1], s0, v0
	ds_write2_b32 v31, v32, v34 offset1:2
	s_waitcnt lgkmcnt(0)
	s_barrier
	s_waitcnt lgkmcnt(0)
                                        ; implicit-def: $vgpr32
                                        ; implicit-def: $vgpr31
	s_and_saveexec_b64 s[2:3], s[0:1]
	s_cbranch_execz .LBB0_15
; %bb.14:
	ds_read2_b32 v[24:25], v26 offset1:100
	ds_read2_b32 v[16:17], v13 offset0:72 offset1:172
	v_add_u32_e32 v13, 0x400, v26
	ds_read2_b32 v[22:23], v11 offset0:32 offset1:132
	ds_read_b32 v31, v26 offset:4000
	ds_read2_b32 v[18:19], v13 offset0:144 offset1:244
	ds_read2_b32 v[20:21], v33 offset0:88 offset1:188
	s_waitcnt lgkmcnt(3)
	v_lshrrev_b32_e32 v29, 16, v23
	v_lshrrev_b32_e32 v28, 16, v24
	s_waitcnt lgkmcnt(2)
	v_lshrrev_b32_e32 v32, 16, v31
	v_alignbit_b32 v24, v24, v22, 16
.LBB0_15:
	s_or_b64 exec, exec, s[2:3]
	v_sub_u32_e32 v11, 0, v14
	v_sub_u32_e32 v13, 0, v15
	;; [unrolled: 1-line block ×3, first 2 shown]
	s_waitcnt lgkmcnt(0)
	s_barrier
	s_and_saveexec_b64 s[2:3], s[0:1]
	s_cbranch_execz .LBB0_17
; %bb.16:
	v_and_b32_e32 v30, 3, v0
	v_mul_u32_u24_e32 v33, 10, v30
	v_lshlrev_b32_e32 v33, 2, v33
	global_load_dwordx2 v[42:43], v33, s[4:5] offset:40
	global_load_dwordx4 v[34:37], v33, s[4:5] offset:8
	global_load_dwordx4 v[38:41], v33, s[4:5] offset:24
	v_lshrrev_b32_e32 v33, 16, v25
	v_lshrrev_b32_e32 v45, 16, v17
	;; [unrolled: 1-line block ×7, first 2 shown]
	s_movk_i32 s9, 0x3b47
	s_movk_i32 s13, 0x3a0c
	s_mov_b32 s10, 0xb482
	s_mov_b32 s11, 0xbbeb
	s_movk_i32 s0, 0x36a6
	s_mov_b32 s12, 0xb853
	s_mov_b32 s1, 0xb93d
	;; [unrolled: 1-line block ×4, first 2 shown]
	s_movk_i32 s8, 0x3abb
	s_movk_i32 s14, 0x3beb
	s_mov_b32 s15, 0xbb47
	s_movk_i32 s16, 0x3853
	s_movk_i32 s17, 0x3482
	s_waitcnt vmcnt(2)
	v_mul_f16_sdwa v50, v31, v43 dst_sel:DWORD dst_unused:UNUSED_PAD src0_sel:DWORD src1_sel:WORD_1
	s_waitcnt vmcnt(1)
	v_mul_f16_sdwa v51, v25, v34 dst_sel:DWORD dst_unused:UNUSED_PAD src0_sel:DWORD src1_sel:WORD_1
	v_mul_f16_sdwa v52, v33, v34 dst_sel:DWORD dst_unused:UNUSED_PAD src0_sel:DWORD src1_sel:WORD_1
	v_mul_f16_sdwa v53, v32, v43 dst_sel:DWORD dst_unused:UNUSED_PAD src0_sel:DWORD src1_sel:WORD_1
	v_mul_f16_sdwa v54, v23, v42 dst_sel:DWORD dst_unused:UNUSED_PAD src0_sel:DWORD src1_sel:WORD_1
	v_mul_f16_sdwa v55, v16, v35 dst_sel:DWORD dst_unused:UNUSED_PAD src0_sel:DWORD src1_sel:WORD_1
	v_mul_f16_sdwa v57, v29, v42 dst_sel:DWORD dst_unused:UNUSED_PAD src0_sel:DWORD src1_sel:WORD_1
	v_mul_f16_sdwa v59, v17, v36 dst_sel:DWORD dst_unused:UNUSED_PAD src0_sel:DWORD src1_sel:WORD_1
	v_mul_f16_sdwa v60, v45, v36 dst_sel:DWORD dst_unused:UNUSED_PAD src0_sel:DWORD src1_sel:WORD_1
	s_waitcnt vmcnt(0)
	v_mul_f16_sdwa v62, v21, v40 dst_sel:DWORD dst_unused:UNUSED_PAD src0_sel:DWORD src1_sel:WORD_1
	v_mul_f16_sdwa v65, v46, v40 dst_sel:DWORD dst_unused:UNUSED_PAD src0_sel:DWORD src1_sel:WORD_1
	;; [unrolled: 1-line block ×4, first 2 shown]
	v_fma_f16 v32, v32, v43, v50
	v_fma_f16 v33, v33, v34, v51
	v_mul_f16_sdwa v56, v44, v35 dst_sel:DWORD dst_unused:UNUSED_PAD src0_sel:DWORD src1_sel:WORD_1
	v_mul_f16_sdwa v58, v22, v41 dst_sel:DWORD dst_unused:UNUSED_PAD src0_sel:DWORD src1_sel:WORD_1
	;; [unrolled: 1-line block ×7, first 2 shown]
	v_fma_f16 v25, v25, v34, -v52
	v_fma_f16 v31, v31, v43, -v53
	v_fma_f16 v29, v29, v42, v54
	v_fma_f16 v34, v44, v35, v55
	v_fma_f16 v23, v23, v42, -v57
	v_fma_f16 v42, v45, v36, v59
	v_fma_f16 v17, v17, v36, -v60
	;; [unrolled: 2-line block ×4, first 2 shown]
	v_add_f16_e32 v38, v33, v32
	v_fma_f16 v16, v16, v35, -v56
	v_fma_f16 v35, v24, v41, v58
	v_fma_f16 v22, v22, v41, -v61
	v_fma_f16 v41, v47, v37, v63
	;; [unrolled: 2-line block ×3, first 2 shown]
	v_fma_f16 v20, v20, v39, -v69
	v_sub_f16_e32 v39, v25, v31
	v_add_f16_e32 v43, v34, v29
	v_mul_f16_e32 v53, 0x36a6, v38
	v_sub_f16_e32 v44, v16, v23
	v_add_f16_e32 v45, v42, v35
	v_mul_f16_e32 v54, 0xb93d, v43
	v_fma_f16 v59, v39, s9, v53
	v_sub_f16_e32 v46, v17, v22
	v_add_f16_e32 v47, v41, v36
	v_mul_f16_e32 v55, 0xbbad, v45
	v_fma_f16 v60, v44, s13, v54
	v_add_f16_e32 v59, v28, v59
	v_sub_f16_e32 v48, v18, v21
	v_add_f16_e32 v49, v40, v37
	v_sub_f16_e32 v52, v33, v32
	v_mul_f16_e32 v56, 0xb08e, v47
	v_fma_f16 v61, v46, s10, v55
	v_add_f16_e32 v59, v60, v59
	v_sub_f16_e32 v50, v19, v20
	v_add_f16_e32 v51, v25, v31
	v_mul_f16_e32 v57, 0x3abb, v49
	v_mul_f16_e32 v58, 0xbb47, v52
	v_fma_f16 v62, v48, s11, v56
	v_add_f16_e32 v59, v61, v59
	v_sub_f16_e32 v61, v34, v29
	v_fma_f16 v63, v50, s12, v57
	v_fma_f16 v64, v51, s0, v58
	v_add_f16_e32 v59, v62, v59
	v_add_f16_e32 v60, v16, v23
	v_mul_f16_e32 v62, 0xba0c, v61
	v_add_f16_sdwa v64, v24, v64 dst_sel:DWORD dst_unused:UNUSED_PAD src0_sel:WORD_1 src1_sel:DWORD
	v_add_f16_e32 v59, v63, v59
	v_fma_f16 v63, v60, s1, v62
	v_sub_f16_e32 v65, v42, v35
	v_add_f16_e32 v63, v63, v64
	v_add_f16_e32 v64, v17, v22
	v_mul_f16_e32 v66, 0x3482, v65
	v_fma_f16 v67, v64, s6, v66
	v_sub_f16_e32 v68, v41, v36
	v_add_f16_e32 v63, v67, v63
	v_add_f16_e32 v67, v18, v21
	v_mul_f16_e32 v69, 0x3beb, v68
	;; [unrolled: 5-line block ×3, first 2 shown]
	v_fma_f16 v73, v70, s8, v72
	v_add_f16_e32 v63, v73, v63
	v_mul_f16_e32 v73, 0xb08e, v38
	v_fma_f16 v74, v39, s14, v73
	v_mul_f16_e32 v75, 0xbbad, v43
	v_add_f16_e32 v74, v28, v74
	v_fma_f16 v76, v44, s10, v75
	v_add_f16_e32 v74, v76, v74
	v_mul_f16_e32 v76, 0x36a6, v45
	v_fma_f16 v77, v46, s15, v76
	v_add_f16_e32 v74, v77, v74
	v_mul_f16_e32 v77, 0x3abb, v47
	;; [unrolled: 3-line block ×4, first 2 shown]
	v_fma_f16 v80, v51, s7, v79
	v_mul_f16_e32 v81, 0x3482, v61
	v_add_f16_sdwa v80, v24, v80 dst_sel:DWORD dst_unused:UNUSED_PAD src0_sel:WORD_1 src1_sel:DWORD
	v_fma_f16 v82, v60, s6, v81
	v_add_f16_e32 v80, v82, v80
	v_mul_f16_e32 v82, 0x3b47, v65
	v_fma_f16 v83, v64, s0, v82
	v_add_f16_e32 v80, v83, v80
	v_mul_f16_e32 v83, 0xb853, v68
	;; [unrolled: 3-line block ×4, first 2 shown]
	v_fma_f16 v86, v39, s13, v85
	v_mul_f16_e32 v87, 0xb08e, v43
	v_add_f16_e32 v86, v28, v86
	v_fma_f16 v88, v44, s11, v87
	v_add_f16_e32 v86, v88, v86
	v_mul_f16_e32 v88, 0x3abb, v45
	v_fma_f16 v89, v46, s16, v88
	v_add_f16_e32 v86, v89, v86
	v_mul_f16_e32 v89, 0xbbad, v47
	;; [unrolled: 3-line block ×4, first 2 shown]
	v_fma_f16 v92, v51, s1, v91
	v_mul_f16_e32 v93, 0x3beb, v61
	v_add_f16_sdwa v92, v24, v92 dst_sel:DWORD dst_unused:UNUSED_PAD src0_sel:WORD_1 src1_sel:DWORD
	v_fma_f16 v94, v60, s7, v93
	v_add_f16_e32 v92, v94, v92
	v_mul_f16_e32 v94, 0xb853, v65
	v_fma_f16 v95, v64, s8, v94
	v_add_f16_e32 v92, v95, v92
	v_mul_f16_e32 v95, 0xb482, v68
	v_fma_f16 v96, v67, s6, v95
	v_add_f16_e32 v92, v96, v92
	v_mul_f16_e32 v96, 0x3b47, v71
	v_fma_f16 v97, v70, s0, v96
	v_add_f16_e32 v92, v97, v92
	v_mul_f16_e32 v97, 0xbbad, v38
	v_fma_f16 v98, v39, s17, v97
	v_mul_f16_e32 v99, 0x3abb, v43
	v_add_f16_e32 v98, v28, v98
	v_fma_f16 v100, v44, s12, v99
	v_add_f16_e32 v98, v100, v98
	v_mul_f16_e32 v100, 0xb93d, v45
	v_fma_f16 v101, v46, s13, v100
	s_mov_b32 s13, 0xba0c
	v_fma_f16 v53, v39, s15, v53
	v_add_f16_e32 v53, v28, v53
	v_fma_f16 v54, v44, s13, v54
	v_add_f16_e32 v53, v54, v53
	;; [unrolled: 2-line block ×5, first 2 shown]
	v_fma_f16 v54, v51, s0, -v58
	v_add_f16_sdwa v54, v24, v54 dst_sel:DWORD dst_unused:UNUSED_PAD src0_sel:WORD_1 src1_sel:DWORD
	v_fma_f16 v55, v60, s1, -v62
	v_add_f16_e32 v54, v55, v54
	v_fma_f16 v55, v64, s6, -v66
	v_add_f16_e32 v54, v55, v54
	v_fma_f16 v55, v67, s7, -v69
	v_fma_f16 v97, v39, s10, v97
	v_fma_f16 v85, v39, s13, v85
	;; [unrolled: 1-line block ×3, first 2 shown]
	v_add_f16_e32 v54, v55, v54
	v_fma_f16 v55, v70, s8, -v72
	v_mul_f16_e32 v39, 0xb853, v39
	v_add_f16_e32 v98, v101, v98
	v_mul_f16_e32 v101, 0x36a6, v47
	v_add_f16_e32 v97, v28, v97
	v_fma_f16 v99, v44, s16, v99
	v_add_f16_e32 v85, v28, v85
	v_fma_f16 v87, v44, s14, v87
	;; [unrolled: 2-line block ×4, first 2 shown]
	v_mul_f16_e32 v44, 0xbb47, v44
	v_add_f16_sdwa v25, v24, v25 dst_sel:DWORD dst_unused:UNUSED_PAD src0_sel:WORD_1 src1_sel:DWORD
	v_fma_f16 v102, v48, s15, v101
	v_add_f16_e32 v97, v99, v97
	v_fma_f16 v99, v46, s13, v100
	v_add_f16_e32 v85, v87, v85
	v_fma_f16 v87, v46, s12, v88
	v_add_f16_e32 v73, v75, v73
	v_fma_f16 v75, v46, s9, v76
	v_add_f16_e32 v55, v28, v55
	v_fma_f16 v56, v43, s0, v44
	v_mul_f16_e32 v46, 0xbbeb, v46
	v_add_f16_e32 v16, v25, v16
	v_add_f16_e32 v98, v102, v98
	v_mul_f16_e32 v102, 0xb08e, v49
	v_add_f16_e32 v97, v99, v97
	v_fma_f16 v99, v48, s9, v101
	v_add_f16_e32 v85, v87, v85
	v_fma_f16 v87, v48, s10, v89
	;; [unrolled: 2-line block ×4, first 2 shown]
	v_mul_f16_e32 v48, 0xba0c, v48
	v_add_f16_e32 v16, v16, v17
	v_fma_f16 v103, v50, s14, v102
	v_add_f16_e32 v97, v99, v97
	v_fma_f16 v99, v50, s11, v102
	;; [unrolled: 2-line block ×5, first 2 shown]
	v_mul_f16_e32 v50, 0xb482, v50
	v_add_f16_e32 v16, v16, v18
	v_fma_f16 v18, v38, s8, -v39
	v_add_f16_e32 v98, v103, v98
	v_mul_f16_e32 v103, 0xb482, v52
	v_add_f16_e32 v55, v56, v55
	v_fma_f16 v56, v49, s6, v50
	v_mul_f16_e32 v52, 0xb853, v52
	v_add_f16_e32 v16, v16, v19
	v_add_f16_e32 v18, v28, v18
	v_fma_f16 v19, v43, s0, -v44
	v_add_f16_e32 v55, v56, v55
	v_fma_f16 v56, v51, s8, -v52
	v_mul_f16_e32 v57, 0xbb47, v61
	v_add_f16_e32 v18, v19, v18
	v_fma_f16 v19, v45, s7, -v46
	v_add_f16_sdwa v56, v24, v56 dst_sel:DWORD dst_unused:UNUSED_PAD src0_sel:WORD_1 src1_sel:DWORD
	v_fma_f16 v58, v60, s0, -v57
	v_add_f16_e32 v17, v28, v33
	v_add_f16_e32 v18, v19, v18
	v_fma_f16 v19, v47, s1, -v48
	v_add_f16_e32 v56, v58, v56
	v_mul_f16_e32 v58, 0xbbeb, v65
	v_add_f16_e32 v17, v17, v34
	v_add_f16_e32 v18, v19, v18
	v_fma_f16 v19, v49, s6, -v50
	v_mul_f16_e32 v105, 0x3853, v61
	v_fma_f16 v61, v64, s7, -v58
	v_add_f16_e32 v17, v17, v42
	v_add_f16_e32 v18, v19, v18
	v_fma_f16 v19, v51, s8, v52
	v_fma_f16 v104, v51, s6, v103
	v_add_f16_e32 v56, v61, v56
	v_mul_f16_e32 v61, 0xba0c, v68
	v_add_f16_e32 v16, v16, v20
	v_add_f16_e32 v17, v17, v41
	v_add_f16_sdwa v19, v24, v19 dst_sel:DWORD dst_unused:UNUSED_PAD src0_sel:WORD_1 src1_sel:DWORD
	v_fma_f16 v20, v60, s0, v57
	v_add_f16_sdwa v104, v24, v104 dst_sel:DWORD dst_unused:UNUSED_PAD src0_sel:WORD_1 src1_sel:DWORD
	v_fma_f16 v106, v60, s8, v105
	v_fma_f16 v62, v67, s1, -v61
	v_add_f16_e32 v17, v17, v40
	v_add_f16_e32 v19, v20, v19
	v_fma_f16 v20, v64, s7, v58
	v_add_f16_e32 v104, v106, v104
	v_mul_f16_e32 v106, 0xba0c, v65
	v_add_f16_e32 v73, v75, v73
	v_fma_f16 v75, v51, s7, -v79
	v_add_f16_e32 v56, v62, v56
	v_mul_f16_e32 v62, 0xb482, v71
	v_add_f16_e32 v17, v17, v37
	v_add_f16_e32 v19, v20, v19
	v_fma_f16 v20, v67, s1, v61
	v_fma_f16 v107, v64, s1, v106
	v_add_f16_e32 v97, v99, v97
	v_fma_f16 v99, v51, s6, -v103
	v_add_f16_e32 v85, v87, v85
	v_fma_f16 v87, v51, s1, -v91
	v_add_f16_sdwa v75, v24, v75 dst_sel:DWORD dst_unused:UNUSED_PAD src0_sel:WORD_1 src1_sel:DWORD
	v_fma_f16 v76, v60, s6, -v81
	v_add_f16_e32 v16, v16, v21
	v_add_f16_e32 v17, v17, v36
	;; [unrolled: 1-line block ×3, first 2 shown]
	v_fma_f16 v20, v70, s6, v62
	v_add_f16_e32 v104, v107, v104
	v_mul_f16_e32 v107, 0x3b47, v68
	v_add_f16_sdwa v99, v24, v99 dst_sel:DWORD dst_unused:UNUSED_PAD src0_sel:WORD_1 src1_sel:DWORD
	v_fma_f16 v100, v60, s8, -v105
	v_add_f16_sdwa v87, v24, v87 dst_sel:DWORD dst_unused:UNUSED_PAD src0_sel:WORD_1 src1_sel:DWORD
	v_fma_f16 v88, v60, s7, -v93
	v_add_f16_e32 v75, v76, v75
	v_fma_f16 v76, v64, s0, -v82
	v_add_f16_e32 v16, v16, v22
	v_add_f16_e32 v17, v17, v35
	;; [unrolled: 1-line block ×3, first 2 shown]
	v_lshrrev_b32_e32 v20, 2, v0
	v_fma_f16 v108, v67, s0, v107
	v_add_f16_e32 v99, v100, v99
	v_fma_f16 v100, v64, s1, -v106
	v_add_f16_e32 v87, v88, v87
	v_fma_f16 v88, v64, s8, -v94
	;; [unrolled: 2-line block ×3, first 2 shown]
	v_fma_f16 v65, v70, s6, -v62
	v_add_f16_e32 v16, v16, v23
	v_add_f16_e32 v17, v17, v29
	v_mul_u32_u24_e32 v20, 44, v20
	v_add_f16_e32 v104, v108, v104
	v_mul_f16_e32 v108, 0xbbeb, v71
	v_add_f16_e32 v99, v100, v99
	v_fma_f16 v100, v67, s0, -v107
	v_add_f16_e32 v87, v88, v87
	v_fma_f16 v88, v67, s6, -v95
	;; [unrolled: 2-line block ×3, first 2 shown]
	v_add_f16_e32 v56, v65, v56
	v_add_f16_e32 v16, v16, v31
	;; [unrolled: 1-line block ×3, first 2 shown]
	v_or_b32_e32 v20, v20, v30
	v_add_f16_e32 v99, v100, v99
	v_fma_f16 v100, v70, s7, -v108
	v_add_f16_e32 v87, v88, v87
	v_fma_f16 v88, v70, s0, -v96
	v_add_f16_e32 v75, v76, v75
	v_lshl_add_u32 v20, v20, 2, 0
	v_pack_b32_f16 v16, v16, v17
	v_pack_b32_f16 v17, v56, v55
	v_fma_f16 v109, v70, s7, v108
	v_add_f16_e32 v99, v100, v99
	v_add_f16_e32 v87, v88, v87
	ds_write2_b32 v20, v16, v17 offset1:4
	v_pack_b32_f16 v16, v54, v53
	v_pack_b32_f16 v17, v75, v73
	v_add_f16_e32 v104, v109, v104
	ds_write2_b32 v20, v16, v17 offset0:8 offset1:12
	v_pack_b32_f16 v16, v87, v85
	v_pack_b32_f16 v17, v99, v97
	ds_write2_b32 v20, v16, v17 offset0:16 offset1:20
	v_pack_b32_f16 v16, v104, v98
	v_pack_b32_f16 v17, v92, v86
	ds_write2_b32 v20, v16, v17 offset0:24 offset1:28
	v_pack_b32_f16 v16, v80, v74
	v_pack_b32_f16 v17, v63, v59
	ds_write2_b32 v20, v16, v17 offset0:32 offset1:36
	v_pack_b32_f16 v16, v19, v18
	ds_write_b32 v20, v16 offset:160
.LBB0_17:
	s_or_b64 exec, exec, s[2:3]
	s_movk_i32 s0, 0xbb
	v_mul_lo_u16_sdwa v16, v0, s0 dst_sel:DWORD dst_unused:UNUSED_PAD src0_sel:BYTE_0 src1_sel:DWORD
	v_lshrrev_b16_e32 v19, 13, v16
	v_mul_lo_u16_e32 v16, 44, v19
	v_sub_u16_e32 v36, v0, v16
	v_mov_b32_e32 v16, 4
	v_lshlrev_b32_sdwa v17, v16, v36 dst_sel:DWORD dst_unused:UNUSED_PAD src0_sel:DWORD src1_sel:BYTE_0
	s_waitcnt lgkmcnt(0)
	s_barrier
	global_load_dwordx4 v[20:23], v17, s[4:5] offset:168
	v_mul_lo_u16_sdwa v17, v4, s0 dst_sel:DWORD dst_unused:UNUSED_PAD src0_sel:BYTE_0 src1_sel:DWORD
	v_lshrrev_b16_e32 v37, 13, v17
	v_mul_lo_u16_e32 v17, 44, v37
	v_sub_u16_e32 v38, v4, v17
	v_lshlrev_b32_sdwa v16, v16, v38 dst_sel:DWORD dst_unused:UNUSED_PAD src0_sel:DWORD src1_sel:BYTE_0
	global_load_dwordx4 v[28:31], v16, s[4:5] offset:168
	v_add_u32_e32 v17, v7, v13
	v_add_u32_e32 v7, 0xa00, v26
	;; [unrolled: 1-line block ×6, first 2 shown]
	ds_read2_b32 v[24:25], v7 offset0:20 offset1:130
	ds_read2_b32 v[32:33], v9 offset0:112 offset1:222
	ds_read_b32 v13, v26
	ds_read_b32 v15, v17
	;; [unrolled: 1-line block ×4, first 2 shown]
	ds_read2_b32 v[34:35], v1 offset0:10 offset1:230
	s_waitcnt lgkmcnt(6)
	v_lshrrev_b32_e32 v47, 16, v24
	v_lshrrev_b32_e32 v43, 16, v25
	s_waitcnt lgkmcnt(2)
	v_lshrrev_b32_e32 v46, 16, v39
	v_lshrrev_b32_e32 v45, 16, v15
	;; [unrolled: 1-line block ×4, first 2 shown]
	s_movk_i32 s1, 0x3b9c
	s_mov_b32 s3, 0xbb9c
	s_movk_i32 s0, 0x38b4
	s_mov_b32 s6, 0xb8b4
	s_movk_i32 s2, 0x34f2
	s_waitcnt lgkmcnt(0)
	v_lshrrev_b32_e32 v42, 16, v35
	v_lshrrev_b32_e32 v49, 16, v34
	;; [unrolled: 1-line block ×3, first 2 shown]
	v_mov_b32_e32 v11, 2
	v_lshlrev_b32_sdwa v36, v11, v36 dst_sel:DWORD dst_unused:UNUSED_PAD src0_sel:DWORD src1_sel:BYTE_0
	v_lshlrev_b32_sdwa v11, v11, v38 dst_sel:DWORD dst_unused:UNUSED_PAD src0_sel:DWORD src1_sel:BYTE_0
	v_lshrrev_b32_e32 v38, 16, v40
	v_mul_u32_u24_e32 v19, 0x370, v19
	v_add3_u32 v19, 0, v19, v36
	s_barrier
	s_waitcnt vmcnt(1)
	v_mul_f16_sdwa v52, v21, v46 dst_sel:DWORD dst_unused:UNUSED_PAD src0_sel:WORD_1 src1_sel:DWORD
	v_mul_f16_sdwa v54, v22, v47 dst_sel:DWORD dst_unused:UNUSED_PAD src0_sel:WORD_1 src1_sel:DWORD
	;; [unrolled: 1-line block ×8, first 2 shown]
	s_waitcnt vmcnt(0)
	v_mul_f16_sdwa v62, v43, v30 dst_sel:DWORD dst_unused:UNUSED_PAD src0_sel:DWORD src1_sel:WORD_1
	v_mul_f16_sdwa v63, v25, v30 dst_sel:DWORD dst_unused:UNUSED_PAD src0_sel:DWORD src1_sel:WORD_1
	v_fma_f16 v39, v21, v39, -v52
	v_fma_f16 v24, v22, v24, -v54
	v_mul_f16_sdwa v64, v44, v31 dst_sel:DWORD dst_unused:UNUSED_PAD src0_sel:DWORD src1_sel:WORD_1
	v_mul_f16_sdwa v65, v33, v31 dst_sel:DWORD dst_unused:UNUSED_PAD src0_sel:DWORD src1_sel:WORD_1
	v_fma_f16 v15, v20, v15, -v50
	v_fma_f16 v20, v20, v45, v51
	v_fma_f16 v32, v23, v32, -v56
	v_fma_f16 v23, v23, v48, v57
	;; [unrolled: 2-line block ×3, first 2 shown]
	v_add_f16_e32 v43, v39, v24
	v_fma_f16 v21, v21, v46, v53
	v_fma_f16 v22, v22, v47, v55
	v_fma_f16 v33, v33, v31, -v64
	v_fma_f16 v31, v44, v31, v65
	v_sub_f16_e32 v44, v20, v23
	v_sub_f16_e32 v46, v15, v39
	v_sub_f16_e32 v47, v32, v24
	v_fma_f16 v43, v43, -0.5, v13
	v_sub_f16_e32 v45, v21, v22
	v_add_f16_e32 v46, v46, v47
	v_fma_f16 v47, v44, s1, v43
	v_fma_f16 v43, v44, s3, v43
	v_fma_f16 v47, v45, s0, v47
	v_fma_f16 v43, v45, s6, v43
	v_mul_f16_sdwa v60, v42, v29 dst_sel:DWORD dst_unused:UNUSED_PAD src0_sel:DWORD src1_sel:WORD_1
	v_mul_f16_sdwa v61, v35, v29 dst_sel:DWORD dst_unused:UNUSED_PAD src0_sel:DWORD src1_sel:WORD_1
	v_fma_f16 v47, v46, s2, v47
	v_fma_f16 v43, v46, s2, v43
	v_add_f16_e32 v46, v15, v32
	v_mul_f16_sdwa v58, v28, v49 dst_sel:DWORD dst_unused:UNUSED_PAD src0_sel:WORD_1 src1_sel:DWORD
	v_mul_f16_sdwa v59, v28, v34 dst_sel:DWORD dst_unused:UNUSED_PAD src0_sel:WORD_1 src1_sel:DWORD
	v_fma_f16 v35, v35, v29, -v60
	v_fma_f16 v29, v42, v29, v61
	v_add_f16_e32 v42, v13, v15
	v_fma_f16 v13, v46, -0.5, v13
	v_fma_f16 v34, v28, v34, -v58
	v_fma_f16 v28, v28, v49, v59
	v_add_f16_e32 v42, v42, v39
	v_fma_f16 v46, v45, s3, v13
	v_sub_f16_e32 v48, v39, v15
	v_sub_f16_e32 v49, v24, v32
	v_fma_f16 v13, v45, s1, v13
	v_add_f16_e32 v45, v21, v22
	v_add_f16_e32 v42, v42, v24
	v_fma_f16 v46, v44, s0, v46
	v_add_f16_e32 v48, v48, v49
	v_fma_f16 v13, v44, s6, v13
	v_fma_f16 v45, v45, -0.5, v41
	v_sub_f16_e32 v15, v15, v32
	v_add_f16_e32 v42, v42, v32
	v_fma_f16 v46, v48, s2, v46
	v_fma_f16 v13, v48, s2, v13
	;; [unrolled: 1-line block ×3, first 2 shown]
	v_sub_f16_e32 v24, v39, v24
	v_sub_f16_e32 v39, v20, v21
	;; [unrolled: 1-line block ×3, first 2 shown]
	v_fma_f16 v45, v15, s1, v45
	v_fma_f16 v32, v24, s6, v32
	v_add_f16_e32 v39, v39, v48
	v_fma_f16 v45, v24, s0, v45
	v_add_f16_e32 v44, v41, v20
	v_fma_f16 v32, v39, s2, v32
	v_fma_f16 v39, v39, s2, v45
	v_add_f16_e32 v45, v20, v23
	v_add_f16_e32 v44, v44, v21
	v_fma_f16 v41, v45, -0.5, v41
	v_add_f16_e32 v44, v44, v22
	v_fma_f16 v45, v24, s1, v41
	v_sub_f16_e32 v20, v21, v20
	v_sub_f16_e32 v21, v22, v23
	v_fma_f16 v22, v24, s3, v41
	v_fma_f16 v45, v15, s6, v45
	;; [unrolled: 1-line block ×3, first 2 shown]
	v_add_f16_e32 v22, v35, v25
	v_add_f16_e32 v44, v44, v23
	v_add_f16_e32 v20, v20, v21
	v_fma_f16 v22, v22, -0.5, v40
	v_sub_f16_e32 v23, v28, v31
	v_fma_f16 v21, v20, s2, v45
	v_fma_f16 v24, v23, s1, v22
	v_sub_f16_e32 v41, v29, v30
	v_sub_f16_e32 v45, v34, v35
	v_sub_f16_e32 v48, v33, v25
	v_fma_f16 v22, v23, s3, v22
	v_fma_f16 v24, v41, s0, v24
	v_add_f16_e32 v45, v45, v48
	v_fma_f16 v22, v41, s6, v22
	v_fma_f16 v15, v20, s2, v15
	v_add_f16_e32 v20, v40, v34
	;; [unrolled: 3-line block ×3, first 2 shown]
	v_add_f16_e32 v20, v20, v35
	v_fma_f16 v40, v45, -0.5, v40
	v_add_f16_e32 v20, v20, v25
	v_fma_f16 v45, v41, s3, v40
	v_sub_f16_e32 v48, v35, v34
	v_sub_f16_e32 v49, v25, v33
	v_fma_f16 v40, v41, s1, v40
	v_add_f16_e32 v41, v29, v30
	v_add_f16_e32 v20, v20, v33
	v_fma_f16 v45, v23, s0, v45
	v_add_f16_e32 v48, v48, v49
	v_fma_f16 v23, v23, s6, v40
	v_fma_f16 v41, v41, -0.5, v38
	v_sub_f16_e32 v33, v34, v33
	v_fma_f16 v45, v48, s2, v45
	v_fma_f16 v23, v48, s2, v23
	;; [unrolled: 1-line block ×3, first 2 shown]
	v_sub_f16_e32 v25, v35, v25
	v_sub_f16_e32 v35, v28, v29
	v_sub_f16_e32 v48, v31, v30
	v_fma_f16 v41, v33, s1, v41
	v_fma_f16 v34, v25, s6, v34
	v_add_f16_e32 v35, v35, v48
	v_fma_f16 v41, v25, s0, v41
	v_add_f16_e32 v40, v38, v28
	v_fma_f16 v34, v35, s2, v34
	v_fma_f16 v35, v35, s2, v41
	v_add_f16_e32 v41, v28, v31
	v_add_f16_e32 v40, v40, v29
	v_fma_f16 v38, v41, -0.5, v38
	v_pack_b32_f16 v21, v46, v21
	v_pack_b32_f16 v13, v13, v15
	v_add_f16_e32 v40, v40, v30
	v_fma_f16 v41, v25, s1, v38
	v_sub_f16_e32 v28, v29, v28
	v_sub_f16_e32 v29, v30, v31
	v_fma_f16 v25, v25, s3, v38
	ds_write2_b32 v19, v21, v13 offset0:88 offset1:132
	v_pack_b32_f16 v13, v43, v39
	v_add_f16_e32 v40, v40, v31
	v_fma_f16 v41, v33, s6, v41
	v_add_f16_e32 v28, v28, v29
	v_fma_f16 v25, v33, s0, v25
	ds_write_b32 v19, v13 offset:704
	v_mul_u32_u24_e32 v13, 0x370, v37
	v_fma_f16 v29, v28, s2, v41
	v_fma_f16 v25, v28, s2, v25
	v_pack_b32_f16 v28, v42, v44
	v_pack_b32_f16 v30, v47, v32
	v_add3_u32 v11, 0, v13, v11
	v_pack_b32_f16 v13, v20, v40
	v_pack_b32_f16 v15, v24, v34
	ds_write2_b32 v19, v28, v30 offset1:44
	ds_write2_b32 v11, v13, v15 offset1:44
	v_pack_b32_f16 v13, v45, v29
	v_pack_b32_f16 v15, v23, v25
	ds_write2_b32 v11, v13, v15 offset0:88 offset1:132
	v_pack_b32_f16 v13, v22, v35
	ds_write_b32 v11, v13 offset:704
	v_mov_b32_e32 v13, 0
	v_lshl_add_u64 v[20:21], v[12:13], 2, s[4:5]
	s_waitcnt lgkmcnt(0)
	s_barrier
	global_load_dwordx4 v[20:23], v[20:21], off offset:872
	v_mov_b32_e32 v15, v13
	v_lshl_add_u64 v[14:15], v[14:15], 2, s[4:5]
	global_load_dwordx4 v[28:31], v[14:15], off offset:872
	ds_read_b32 v11, v26
	ds_read_b32 v19, v17
	;; [unrolled: 1-line block ×4, first 2 shown]
	ds_read2_b32 v[14:15], v1 offset0:10 offset1:230
	ds_read2_b32 v[24:25], v7 offset0:20 offset1:130
	ds_read2_b32 v[32:33], v9 offset0:112 offset1:222
	s_waitcnt lgkmcnt(5)
	v_lshrrev_b32_e32 v38, 16, v19
	v_lshrrev_b32_e32 v1, 16, v11
	s_waitcnt lgkmcnt(2)
	v_lshrrev_b32_e32 v9, 16, v15
	s_waitcnt lgkmcnt(1)
	;; [unrolled: 2-line block ×3, first 2 shown]
	v_lshrrev_b32_e32 v37, 16, v33
	v_lshrrev_b32_e32 v7, 16, v35
	s_barrier
	v_sub_u32_e32 v12, 0, v12
	s_waitcnt vmcnt(1)
	v_mul_f16_sdwa v39, v20, v38 dst_sel:DWORD dst_unused:UNUSED_PAD src0_sel:WORD_1 src1_sel:DWORD
	v_fma_f16 v39, v20, v19, -v39
	v_mul_f16_sdwa v19, v20, v19 dst_sel:DWORD dst_unused:UNUSED_PAD src0_sel:WORD_1 src1_sel:DWORD
	v_fma_f16 v19, v20, v38, v19
	v_lshrrev_b32_e32 v20, 16, v34
	v_mul_f16_sdwa v38, v21, v20 dst_sel:DWORD dst_unused:UNUSED_PAD src0_sel:WORD_1 src1_sel:DWORD
	v_fma_f16 v38, v21, v34, -v38
	v_mul_f16_sdwa v34, v21, v34 dst_sel:DWORD dst_unused:UNUSED_PAD src0_sel:WORD_1 src1_sel:DWORD
	v_fma_f16 v20, v21, v20, v34
	v_lshrrev_b32_e32 v21, 16, v24
	;; [unrolled: 5-line block ×4, first 2 shown]
	s_waitcnt vmcnt(0)
	v_mul_f16_sdwa v32, v28, v23 dst_sel:DWORD dst_unused:UNUSED_PAD src0_sel:WORD_1 src1_sel:DWORD
	v_fma_f16 v32, v28, v14, -v32
	v_mul_f16_sdwa v14, v28, v14 dst_sel:DWORD dst_unused:UNUSED_PAD src0_sel:WORD_1 src1_sel:DWORD
	v_fma_f16 v14, v28, v23, v14
	v_mul_f16_sdwa v23, v9, v29 dst_sel:DWORD dst_unused:UNUSED_PAD src0_sel:DWORD src1_sel:WORD_1
	v_fma_f16 v23, v15, v29, -v23
	v_mul_f16_sdwa v15, v15, v29 dst_sel:DWORD dst_unused:UNUSED_PAD src0_sel:DWORD src1_sel:WORD_1
	v_fma_f16 v9, v9, v29, v15
	v_mul_f16_sdwa v28, v37, v31 dst_sel:DWORD dst_unused:UNUSED_PAD src0_sel:DWORD src1_sel:WORD_1
	v_mul_f16_sdwa v29, v33, v31 dst_sel:DWORD dst_unused:UNUSED_PAD src0_sel:DWORD src1_sel:WORD_1
	;; [unrolled: 1-line block ×3, first 2 shown]
	v_fma_f16 v28, v33, v31, -v28
	v_fma_f16 v29, v37, v31, v29
	v_add_f16_e32 v31, v38, v34
	v_fma_f16 v15, v25, v30, -v15
	v_mul_f16_sdwa v25, v25, v30 dst_sel:DWORD dst_unused:UNUSED_PAD src0_sel:DWORD src1_sel:WORD_1
	v_fma_f16 v31, v31, -0.5, v11
	v_sub_f16_e32 v33, v19, v22
	v_fma_f16 v25, v36, v30, v25
	v_fma_f16 v36, v33, s1, v31
	v_sub_f16_e32 v37, v20, v21
	v_sub_f16_e32 v40, v39, v38
	v_sub_f16_e32 v41, v24, v34
	v_fma_f16 v31, v33, s3, v31
	v_fma_f16 v36, v37, s0, v36
	v_add_f16_e32 v40, v40, v41
	v_fma_f16 v31, v37, s6, v31
	v_add_f16_e32 v30, v11, v39
	v_fma_f16 v36, v40, s2, v36
	v_fma_f16 v31, v40, s2, v31
	v_add_f16_e32 v40, v39, v24
	v_add_f16_e32 v30, v30, v38
	v_fma_f16 v11, v40, -0.5, v11
	v_add_f16_e32 v30, v30, v34
	v_fma_f16 v40, v37, s3, v11
	v_fma_f16 v11, v37, s1, v11
	v_add_f16_e32 v37, v20, v21
	v_add_f16_e32 v30, v30, v24
	v_sub_f16_e32 v41, v38, v39
	v_sub_f16_e32 v42, v34, v24
	v_fma_f16 v37, v37, -0.5, v1
	v_sub_f16_e32 v24, v39, v24
	v_fma_f16 v40, v33, s0, v40
	v_add_f16_e32 v41, v41, v42
	v_fma_f16 v11, v33, s6, v11
	v_fma_f16 v39, v24, s3, v37
	v_sub_f16_e32 v34, v38, v34
	v_fma_f16 v40, v41, s2, v40
	v_fma_f16 v11, v41, s2, v11
	v_fma_f16 v38, v34, s6, v39
	v_sub_f16_e32 v39, v19, v20
	v_sub_f16_e32 v41, v22, v21
	v_fma_f16 v37, v24, s1, v37
	v_add_f16_e32 v39, v39, v41
	v_fma_f16 v37, v34, s0, v37
	v_add_f16_e32 v33, v1, v19
	v_fma_f16 v38, v39, s2, v38
	v_fma_f16 v37, v39, s2, v37
	v_add_f16_e32 v39, v19, v22
	v_add_f16_e32 v33, v33, v20
	v_fma_f16 v1, v39, -0.5, v1
	v_add_f16_e32 v33, v33, v21
	v_fma_f16 v39, v34, s1, v1
	v_sub_f16_e32 v19, v20, v19
	v_sub_f16_e32 v20, v21, v22
	v_add_f16_e32 v21, v23, v15
	v_add_f16_e32 v33, v33, v22
	v_fma_f16 v39, v24, s6, v39
	v_add_f16_e32 v19, v19, v20
	v_fma_f16 v1, v34, s3, v1
	v_fma_f16 v21, v21, -0.5, v35
	v_sub_f16_e32 v22, v14, v29
	v_fma_f16 v20, v19, s2, v39
	v_fma_f16 v1, v24, s0, v1
	;; [unrolled: 1-line block ×3, first 2 shown]
	v_sub_f16_e32 v34, v9, v25
	v_sub_f16_e32 v39, v32, v23
	;; [unrolled: 1-line block ×3, first 2 shown]
	v_fma_f16 v21, v22, s3, v21
	v_fma_f16 v24, v34, s0, v24
	v_add_f16_e32 v39, v39, v41
	v_fma_f16 v21, v34, s6, v21
	v_fma_f16 v1, v19, s2, v1
	v_add_f16_e32 v19, v35, v32
	;; [unrolled: 3-line block ×3, first 2 shown]
	v_add_f16_e32 v19, v19, v23
	v_fma_f16 v35, v39, -0.5, v35
	v_add_f16_e32 v19, v19, v15
	v_fma_f16 v39, v34, s3, v35
	v_fma_f16 v34, v34, s1, v35
	v_add_f16_e32 v35, v9, v25
	v_add_f16_e32 v19, v19, v28
	v_sub_f16_e32 v41, v23, v32
	v_sub_f16_e32 v42, v15, v28
	v_fma_f16 v35, v35, -0.5, v7
	v_sub_f16_e32 v28, v32, v28
	v_fma_f16 v39, v22, s0, v39
	v_add_f16_e32 v41, v41, v42
	v_fma_f16 v22, v22, s6, v34
	v_fma_f16 v32, v28, s3, v35
	v_sub_f16_e32 v15, v23, v15
	v_fma_f16 v39, v41, s2, v39
	v_fma_f16 v22, v41, s2, v22
	;; [unrolled: 1-line block ×3, first 2 shown]
	v_sub_f16_e32 v32, v14, v9
	v_sub_f16_e32 v41, v29, v25
	v_fma_f16 v35, v28, s1, v35
	v_add_f16_e32 v32, v32, v41
	v_fma_f16 v35, v15, s0, v35
	v_fma_f16 v23, v32, s2, v23
	;; [unrolled: 1-line block ×3, first 2 shown]
	v_add_f16_e32 v35, v14, v29
	v_add_f16_e32 v34, v7, v14
	v_fma_f16 v7, v35, -0.5, v7
	v_add_f16_e32 v34, v34, v9
	v_fma_f16 v35, v15, s1, v7
	v_sub_f16_e32 v9, v9, v14
	v_sub_f16_e32 v14, v25, v29
	v_fma_f16 v7, v15, s3, v7
	v_fma_f16 v35, v28, s6, v35
	v_add_f16_e32 v9, v9, v14
	v_fma_f16 v7, v28, s0, v7
	v_fma_f16 v14, v9, s2, v35
	v_fma_f16 v7, v9, s2, v7
	v_pack_b32_f16 v9, v30, v33
	v_pack_b32_f16 v15, v36, v38
	v_add_f16_e32 v34, v34, v25
	ds_write2_b32 v26, v9, v15 offset1:220
	v_pack_b32_f16 v9, v40, v20
	v_pack_b32_f16 v1, v11, v1
	v_add_u32_e32 v11, 0x680, v26
	v_add_f16_e32 v34, v34, v29
	ds_write2_b32 v11, v9, v1 offset0:24 offset1:244
	v_pack_b32_f16 v1, v31, v37
	ds_write_b32 v26, v1 offset:3520
	v_pack_b32_f16 v1, v19, v34
	v_pack_b32_f16 v9, v24, v23
	ds_write2_b32 v18, v1, v9 offset1:220
	v_pack_b32_f16 v1, v39, v14
	v_pack_b32_f16 v7, v22, v7
	v_add_u32_e32 v9, 0x680, v18
	ds_write2_b32 v9, v1, v7 offset0:24 offset1:244
	v_pack_b32_f16 v1, v21, v32
	ds_write_b32 v18, v1 offset:3520
	s_waitcnt lgkmcnt(0)
	s_barrier
	ds_read_b32 v9, v26
	s_add_u32 s2, s4, 0x1128
	s_addc_u32 s3, s5, 0
	v_cmp_ne_u32_e64 s[0:1], 0, v0
                                        ; implicit-def: $vgpr14
                                        ; implicit-def: $vgpr7
	s_and_saveexec_b64 s[4:5], s[0:1]
	s_xor_b64 s[0:1], exec, s[4:5]
	s_cbranch_execz .LBB0_19
; %bb.18:
	v_mov_b32_e32 v1, v13
	v_lshl_add_u64 v[14:15], v[0:1], 2, s[2:3]
	global_load_dword v1, v[14:15], off
	ds_read_b32 v7, v12 offset:4400
	s_waitcnt lgkmcnt(0)
	v_add_f16_e32 v11, v7, v9
	v_add_f16_sdwa v13, v7, v9 dst_sel:DWORD dst_unused:UNUSED_PAD src0_sel:WORD_1 src1_sel:WORD_1
	v_sub_f16_e32 v14, v9, v7
	v_sub_f16_sdwa v7, v9, v7 dst_sel:DWORD dst_unused:UNUSED_PAD src0_sel:WORD_1 src1_sel:WORD_1
	v_mul_f16_e32 v9, 0.5, v13
	v_mul_f16_e32 v13, 0.5, v14
	;; [unrolled: 1-line block ×3, first 2 shown]
	s_waitcnt vmcnt(0)
	v_lshrrev_b32_e32 v14, 16, v1
	v_mul_f16_e32 v15, v14, v13
	v_fma_f16 v19, v9, v14, v7
	v_fma_f16 v7, v9, v14, -v7
	v_fma_f16 v14, v11, 0.5, v15
	v_fma_f16 v19, -v1, v13, v19
	v_fma_f16 v11, v11, 0.5, -v15
	v_fma_f16 v13, -v1, v13, v7
	v_fma_f16 v7, v1, v9, v14
	ds_write_b16 v26, v19 offset:2
	v_fma_f16 v14, -v1, v9, v11
	ds_write_b16 v12, v13 offset:4402
                                        ; implicit-def: $vgpr9
.LBB0_19:
	s_or_saveexec_b64 s[0:1], s[0:1]
	v_sub_u32_e32 v1, 0, v5
	s_xor_b64 exec, exec, s[0:1]
	s_cbranch_execz .LBB0_21
; %bb.20:
	v_mov_b32_e32 v5, 0
	ds_write_b16 v26, v5 offset:2
	ds_write_b16 v12, v5 offset:4402
	ds_read_u16 v11, v5 offset:2202
	s_waitcnt lgkmcnt(3)
	v_add_f16_sdwa v7, v9, v9 dst_sel:DWORD dst_unused:UNUSED_PAD src0_sel:WORD_1 src1_sel:DWORD
	v_sub_f16_sdwa v14, v9, v9 dst_sel:DWORD dst_unused:UNUSED_PAD src0_sel:DWORD src1_sel:WORD_1
	s_waitcnt lgkmcnt(0)
	v_xor_b32_e32 v9, 0x8000, v11
	ds_write_b16 v5, v9 offset:2202
.LBB0_21:
	s_or_b64 exec, exec, s[0:1]
	v_mov_b32_e32 v5, 0
	v_lshl_add_u64 v[20:21], v[4:5], 2, s[2:3]
	global_load_dword v4, v[20:21], off
	v_mov_b32_e32 v11, v5
	v_lshl_add_u64 v[10:11], v[10:11], 2, s[2:3]
	global_load_dword v10, v[10:11], off
	s_waitcnt lgkmcnt(0)
	v_mov_b32_e32 v9, v5
	v_lshl_add_u64 v[8:9], v[8:9], 2, s[2:3]
	global_load_dword v8, v[8:9], off
	ds_write_b16 v26, v7
	ds_write_b16 v12, v14 offset:4400
	v_mov_b32_e32 v7, v5
	v_lshl_add_u64 v[6:7], v[6:7], 2, s[2:3]
	ds_read_b32 v9, v18
	ds_read_b32 v11, v12 offset:3960
	global_load_dword v6, v[6:7], off
	s_mov_b32 s0, 0xffff
	v_add_u32_e32 v1, v27, v1
	s_waitcnt lgkmcnt(0)
	v_pk_add_f16 v7, v9, v11 neg_lo:[0,1] neg_hi:[0,1]
	v_pk_add_f16 v9, v9, v11
	s_nop 0
	v_bfi_b32 v11, s0, v7, v9
	v_bfi_b32 v7, s0, v9, v7
	v_pk_mul_f16 v9, v11, 0.5 op_sel_hi:[1,0]
	v_pk_mul_f16 v7, v7, 0.5 op_sel_hi:[1,0]
	s_waitcnt vmcnt(3)
	v_pk_mul_f16 v13, v4, v9 op_sel_hi:[0,1]
	v_pk_fma_f16 v11, v4, v9, v7 op_sel:[1,0,0]
	v_pk_fma_f16 v14, v4, v9, v7 op_sel:[1,0,0] neg_lo:[1,0,0] neg_hi:[1,0,0]
	v_pk_fma_f16 v4, v4, v9, v7 op_sel:[1,0,0] neg_lo:[0,0,1] neg_hi:[0,0,1]
	v_pk_add_f16 v7, v11, v13 op_sel:[0,1] op_sel_hi:[1,0]
	v_pk_add_f16 v9, v11, v13 op_sel:[0,1] op_sel_hi:[1,0] neg_lo:[0,1] neg_hi:[0,1]
	v_pk_add_f16 v11, v14, v13 op_sel:[0,1] op_sel_hi:[1,0] neg_lo:[0,1] neg_hi:[0,1]
	v_pk_add_f16 v4, v4, v13 op_sel:[0,1] op_sel_hi:[1,0] neg_lo:[0,1] neg_hi:[0,1]
	v_bfi_b32 v7, s0, v7, v9
	v_bfi_b32 v4, s0, v11, v4
	ds_write_b32 v18, v7
	ds_write_b32 v12, v4 offset:3960
	ds_read_b32 v4, v17
	ds_read_b32 v7, v12 offset:3520
	s_waitcnt lgkmcnt(0)
	v_pk_add_f16 v9, v4, v7 neg_lo:[0,1] neg_hi:[0,1]
	v_pk_add_f16 v4, v4, v7
	s_nop 0
	v_bfi_b32 v7, s0, v9, v4
	v_bfi_b32 v4, s0, v4, v9
	v_pk_mul_f16 v7, v7, 0.5 op_sel_hi:[1,0]
	v_pk_mul_f16 v4, v4, 0.5 op_sel_hi:[1,0]
	s_waitcnt vmcnt(2)
	v_pk_mul_f16 v11, v10, v7 op_sel_hi:[0,1]
	v_pk_fma_f16 v9, v10, v7, v4 op_sel:[1,0,0]
	v_pk_fma_f16 v13, v10, v7, v4 op_sel:[1,0,0] neg_lo:[1,0,0] neg_hi:[1,0,0]
	v_pk_fma_f16 v4, v10, v7, v4 op_sel:[1,0,0] neg_lo:[0,0,1] neg_hi:[0,0,1]
	v_pk_add_f16 v7, v9, v11 op_sel:[0,1] op_sel_hi:[1,0]
	v_pk_add_f16 v9, v9, v11 op_sel:[0,1] op_sel_hi:[1,0] neg_lo:[0,1] neg_hi:[0,1]
	v_pk_add_f16 v10, v13, v11 op_sel:[0,1] op_sel_hi:[1,0] neg_lo:[0,1] neg_hi:[0,1]
	v_pk_add_f16 v4, v4, v11 op_sel:[0,1] op_sel_hi:[1,0] neg_lo:[0,1] neg_hi:[0,1]
	v_bfi_b32 v7, s0, v7, v9
	v_bfi_b32 v4, s0, v10, v4
	ds_write_b32 v17, v7
	ds_write_b32 v12, v4 offset:3520
	ds_read_b32 v4, v1
	ds_read_b32 v7, v12 offset:3080
	;; [unrolled: 23-line block ×3, first 2 shown]
	s_waitcnt lgkmcnt(0)
	v_pk_add_f16 v7, v1, v4 neg_lo:[0,1] neg_hi:[0,1]
	v_pk_add_f16 v1, v1, v4
	s_nop 0
	v_bfi_b32 v4, s0, v7, v1
	v_bfi_b32 v1, s0, v1, v7
	v_pk_mul_f16 v4, v4, 0.5 op_sel_hi:[1,0]
	v_pk_mul_f16 v1, v1, 0.5 op_sel_hi:[1,0]
	s_waitcnt vmcnt(0)
	v_pk_mul_f16 v8, v6, v4 op_sel_hi:[0,1]
	v_pk_fma_f16 v7, v6, v4, v1 op_sel:[1,0,0]
	v_pk_fma_f16 v9, v6, v4, v1 op_sel:[1,0,0] neg_lo:[1,0,0] neg_hi:[1,0,0]
	v_pk_fma_f16 v1, v6, v4, v1 op_sel:[1,0,0] neg_lo:[0,0,1] neg_hi:[0,0,1]
	v_pk_add_f16 v4, v7, v8 op_sel:[0,1] op_sel_hi:[1,0]
	v_pk_add_f16 v6, v7, v8 op_sel:[0,1] op_sel_hi:[1,0] neg_lo:[0,1] neg_hi:[0,1]
	v_pk_add_f16 v7, v9, v8 op_sel:[0,1] op_sel_hi:[1,0] neg_lo:[0,1] neg_hi:[0,1]
	;; [unrolled: 1-line block ×3, first 2 shown]
	v_bfi_b32 v4, s0, v4, v6
	v_bfi_b32 v1, s0, v7, v1
	ds_write_b32 v16, v4
	ds_write_b32 v12, v1 offset:2640
	s_waitcnt lgkmcnt(0)
	s_barrier
	s_and_saveexec_b64 s[0:1], vcc
	s_cbranch_execz .LBB0_24
; %bb.22:
	ds_read2_b32 v[6:7], v26 offset1:110
	v_add_u32_e32 v1, 0x200, v26
	ds_read2_b32 v[8:9], v1 offset0:92 offset1:202
	v_mov_b32_e32 v1, v5
	v_lshl_add_u64 v[4:5], v[0:1], 2, v[2:3]
	s_waitcnt lgkmcnt(1)
	global_store_dword v[4:5], v6, off
	global_store_dword v[4:5], v7, off offset:440
	s_waitcnt lgkmcnt(0)
	global_store_dword v[4:5], v8, off offset:880
	global_store_dword v[4:5], v9, off offset:1320
	v_add_u32_e32 v1, 0x600, v26
	ds_read2_b32 v[6:7], v1 offset0:56 offset1:166
	v_add_u32_e32 v1, 0xa00, v26
	ds_read2_b32 v[8:9], v1 offset0:20 offset1:130
	v_add_u32_e32 v1, 0xc00, v26
	s_movk_i32 s0, 0x6d
	ds_read2_b32 v[10:11], v1 offset0:112 offset1:222
	v_cmp_eq_u32_e32 vcc, s0, v0
	s_waitcnt lgkmcnt(2)
	global_store_dword v[4:5], v6, off offset:1760
	global_store_dword v[4:5], v7, off offset:2200
	s_waitcnt lgkmcnt(1)
	global_store_dword v[4:5], v8, off offset:2640
	global_store_dword v[4:5], v9, off offset:3080
	s_waitcnt lgkmcnt(0)
	global_store_dword v[4:5], v10, off offset:3520
	global_store_dword v[4:5], v11, off offset:3960
	s_and_b64 exec, exec, vcc
	s_cbranch_execz .LBB0_24
; %bb.23:
	v_mov_b32_e32 v0, 0
	ds_read_b32 v4, v0 offset:4400
	v_add_co_u32_e32 v0, vcc, 0x1000, v2
	s_nop 1
	v_addc_co_u32_e32 v1, vcc, 0, v3, vcc
	s_waitcnt lgkmcnt(0)
	global_store_dword v[0:1], v4, off offset:304
.LBB0_24:
	s_endpgm
	.section	.rodata,"a",@progbits
	.p2align	6, 0x0
	.amdhsa_kernel fft_rtc_fwd_len1100_factors_2_2_11_5_5_wgs_110_tpt_110_half_ip_CI_unitstride_sbrr_R2C_dirReg
		.amdhsa_group_segment_fixed_size 0
		.amdhsa_private_segment_fixed_size 0
		.amdhsa_kernarg_size 88
		.amdhsa_user_sgpr_count 2
		.amdhsa_user_sgpr_dispatch_ptr 0
		.amdhsa_user_sgpr_queue_ptr 0
		.amdhsa_user_sgpr_kernarg_segment_ptr 1
		.amdhsa_user_sgpr_dispatch_id 0
		.amdhsa_user_sgpr_kernarg_preload_length 0
		.amdhsa_user_sgpr_kernarg_preload_offset 0
		.amdhsa_user_sgpr_private_segment_size 0
		.amdhsa_uses_dynamic_stack 0
		.amdhsa_enable_private_segment 0
		.amdhsa_system_sgpr_workgroup_id_x 1
		.amdhsa_system_sgpr_workgroup_id_y 0
		.amdhsa_system_sgpr_workgroup_id_z 0
		.amdhsa_system_sgpr_workgroup_info 0
		.amdhsa_system_vgpr_workitem_id 0
		.amdhsa_next_free_vgpr 110
		.amdhsa_next_free_sgpr 22
		.amdhsa_accum_offset 112
		.amdhsa_reserve_vcc 1
		.amdhsa_float_round_mode_32 0
		.amdhsa_float_round_mode_16_64 0
		.amdhsa_float_denorm_mode_32 3
		.amdhsa_float_denorm_mode_16_64 3
		.amdhsa_dx10_clamp 1
		.amdhsa_ieee_mode 1
		.amdhsa_fp16_overflow 0
		.amdhsa_tg_split 0
		.amdhsa_exception_fp_ieee_invalid_op 0
		.amdhsa_exception_fp_denorm_src 0
		.amdhsa_exception_fp_ieee_div_zero 0
		.amdhsa_exception_fp_ieee_overflow 0
		.amdhsa_exception_fp_ieee_underflow 0
		.amdhsa_exception_fp_ieee_inexact 0
		.amdhsa_exception_int_div_zero 0
	.end_amdhsa_kernel
	.text
.Lfunc_end0:
	.size	fft_rtc_fwd_len1100_factors_2_2_11_5_5_wgs_110_tpt_110_half_ip_CI_unitstride_sbrr_R2C_dirReg, .Lfunc_end0-fft_rtc_fwd_len1100_factors_2_2_11_5_5_wgs_110_tpt_110_half_ip_CI_unitstride_sbrr_R2C_dirReg
                                        ; -- End function
	.section	.AMDGPU.csdata,"",@progbits
; Kernel info:
; codeLenInByte = 8960
; NumSgprs: 28
; NumVgprs: 110
; NumAgprs: 0
; TotalNumVgprs: 110
; ScratchSize: 0
; MemoryBound: 0
; FloatMode: 240
; IeeeMode: 1
; LDSByteSize: 0 bytes/workgroup (compile time only)
; SGPRBlocks: 3
; VGPRBlocks: 13
; NumSGPRsForWavesPerEU: 28
; NumVGPRsForWavesPerEU: 110
; AccumOffset: 112
; Occupancy: 4
; WaveLimiterHint : 1
; COMPUTE_PGM_RSRC2:SCRATCH_EN: 0
; COMPUTE_PGM_RSRC2:USER_SGPR: 2
; COMPUTE_PGM_RSRC2:TRAP_HANDLER: 0
; COMPUTE_PGM_RSRC2:TGID_X_EN: 1
; COMPUTE_PGM_RSRC2:TGID_Y_EN: 0
; COMPUTE_PGM_RSRC2:TGID_Z_EN: 0
; COMPUTE_PGM_RSRC2:TIDIG_COMP_CNT: 0
; COMPUTE_PGM_RSRC3_GFX90A:ACCUM_OFFSET: 27
; COMPUTE_PGM_RSRC3_GFX90A:TG_SPLIT: 0
	.text
	.p2alignl 6, 3212836864
	.fill 256, 4, 3212836864
	.type	__hip_cuid_89d3bd505c6c87b7,@object ; @__hip_cuid_89d3bd505c6c87b7
	.section	.bss,"aw",@nobits
	.globl	__hip_cuid_89d3bd505c6c87b7
__hip_cuid_89d3bd505c6c87b7:
	.byte	0                               ; 0x0
	.size	__hip_cuid_89d3bd505c6c87b7, 1

	.ident	"AMD clang version 19.0.0git (https://github.com/RadeonOpenCompute/llvm-project roc-6.4.0 25133 c7fe45cf4b819c5991fe208aaa96edf142730f1d)"
	.section	".note.GNU-stack","",@progbits
	.addrsig
	.addrsig_sym __hip_cuid_89d3bd505c6c87b7
	.amdgpu_metadata
---
amdhsa.kernels:
  - .agpr_count:     0
    .args:
      - .actual_access:  read_only
        .address_space:  global
        .offset:         0
        .size:           8
        .value_kind:     global_buffer
      - .offset:         8
        .size:           8
        .value_kind:     by_value
      - .actual_access:  read_only
        .address_space:  global
        .offset:         16
        .size:           8
        .value_kind:     global_buffer
      - .actual_access:  read_only
        .address_space:  global
        .offset:         24
        .size:           8
        .value_kind:     global_buffer
      - .offset:         32
        .size:           8
        .value_kind:     by_value
      - .actual_access:  read_only
        .address_space:  global
        .offset:         40
        .size:           8
        .value_kind:     global_buffer
      - .actual_access:  read_only
        .address_space:  global
        .offset:         48
        .size:           8
        .value_kind:     global_buffer
      - .offset:         56
        .size:           4
        .value_kind:     by_value
      - .actual_access:  read_only
        .address_space:  global
        .offset:         64
        .size:           8
        .value_kind:     global_buffer
      - .actual_access:  read_only
        .address_space:  global
        .offset:         72
        .size:           8
        .value_kind:     global_buffer
      - .address_space:  global
        .offset:         80
        .size:           8
        .value_kind:     global_buffer
    .group_segment_fixed_size: 0
    .kernarg_segment_align: 8
    .kernarg_segment_size: 88
    .language:       OpenCL C
    .language_version:
      - 2
      - 0
    .max_flat_workgroup_size: 110
    .name:           fft_rtc_fwd_len1100_factors_2_2_11_5_5_wgs_110_tpt_110_half_ip_CI_unitstride_sbrr_R2C_dirReg
    .private_segment_fixed_size: 0
    .sgpr_count:     28
    .sgpr_spill_count: 0
    .symbol:         fft_rtc_fwd_len1100_factors_2_2_11_5_5_wgs_110_tpt_110_half_ip_CI_unitstride_sbrr_R2C_dirReg.kd
    .uniform_work_group_size: 1
    .uses_dynamic_stack: false
    .vgpr_count:     110
    .vgpr_spill_count: 0
    .wavefront_size: 64
amdhsa.target:   amdgcn-amd-amdhsa--gfx950
amdhsa.version:
  - 1
  - 2
...

	.end_amdgpu_metadata
